;; amdgpu-corpus repo=ROCm/rocFFT kind=compiled arch=gfx906 opt=O3
	.text
	.amdgcn_target "amdgcn-amd-amdhsa--gfx906"
	.amdhsa_code_object_version 6
	.protected	fft_rtc_back_len27_factors_3_3_3_wgs_252_tpt_9_halfLds_dp_ip_CI_sbrr_dirReg ; -- Begin function fft_rtc_back_len27_factors_3_3_3_wgs_252_tpt_9_halfLds_dp_ip_CI_sbrr_dirReg
	.globl	fft_rtc_back_len27_factors_3_3_3_wgs_252_tpt_9_halfLds_dp_ip_CI_sbrr_dirReg
	.p2align	8
	.type	fft_rtc_back_len27_factors_3_3_3_wgs_252_tpt_9_halfLds_dp_ip_CI_sbrr_dirReg,@function
fft_rtc_back_len27_factors_3_3_3_wgs_252_tpt_9_halfLds_dp_ip_CI_sbrr_dirReg: ; @fft_rtc_back_len27_factors_3_3_3_wgs_252_tpt_9_halfLds_dp_ip_CI_sbrr_dirReg
; %bb.0:
	s_load_dwordx2 s[14:15], s[4:5], 0x18
	s_load_dwordx4 s[8:11], s[4:5], 0x0
	s_load_dwordx2 s[12:13], s[4:5], 0x50
	v_mul_u32_u24_e32 v1, 0x1c72, v0
	v_lshrrev_b32_e32 v1, 16, v1
	v_mad_u64_u32 v[12:13], s[0:1], s6, 28, v[1:2]
	s_waitcnt lgkmcnt(0)
	s_load_dwordx2 s[2:3], s[14:15], 0x0
	v_mov_b32_e32 v3, 0
	v_cmp_lt_u64_e64 s[0:1], s[10:11], 2
	v_mov_b32_e32 v13, v3
	v_mov_b32_e32 v1, 0
	;; [unrolled: 1-line block ×3, first 2 shown]
	s_and_b64 vcc, exec, s[0:1]
	v_mov_b32_e32 v2, 0
	v_mov_b32_e32 v8, v13
	s_cbranch_vccnz .LBB0_8
; %bb.1:
	s_load_dwordx2 s[0:1], s[4:5], 0x10
	s_add_u32 s6, s14, 8
	s_addc_u32 s7, s15, 0
	v_mov_b32_e32 v1, 0
	v_mov_b32_e32 v5, v12
	s_waitcnt lgkmcnt(0)
	s_add_u32 s18, s0, 8
	s_mov_b64 s[16:17], 1
	v_mov_b32_e32 v2, 0
	s_addc_u32 s19, s1, 0
	v_mov_b32_e32 v6, v13
.LBB0_2:                                ; =>This Inner Loop Header: Depth=1
	s_load_dwordx2 s[20:21], s[18:19], 0x0
                                        ; implicit-def: $vgpr7_vgpr8
	s_waitcnt lgkmcnt(0)
	v_or_b32_e32 v4, s21, v6
	v_cmp_ne_u64_e32 vcc, 0, v[3:4]
	s_and_saveexec_b64 s[0:1], vcc
	s_xor_b64 s[22:23], exec, s[0:1]
	s_cbranch_execz .LBB0_4
; %bb.3:                                ;   in Loop: Header=BB0_2 Depth=1
	v_cvt_f32_u32_e32 v4, s20
	v_cvt_f32_u32_e32 v7, s21
	s_sub_u32 s0, 0, s20
	s_subb_u32 s1, 0, s21
	v_mac_f32_e32 v4, 0x4f800000, v7
	v_rcp_f32_e32 v4, v4
	v_mul_f32_e32 v4, 0x5f7ffffc, v4
	v_mul_f32_e32 v7, 0x2f800000, v4
	v_trunc_f32_e32 v7, v7
	v_mac_f32_e32 v4, 0xcf800000, v7
	v_cvt_u32_f32_e32 v7, v7
	v_cvt_u32_f32_e32 v4, v4
	v_mul_lo_u32 v8, s0, v7
	v_mul_hi_u32 v9, s0, v4
	v_mul_lo_u32 v11, s1, v4
	v_mul_lo_u32 v10, s0, v4
	v_add_u32_e32 v8, v9, v8
	v_add_u32_e32 v8, v8, v11
	v_mul_hi_u32 v9, v4, v10
	v_mul_lo_u32 v11, v4, v8
	v_mul_hi_u32 v14, v4, v8
	v_mul_hi_u32 v13, v7, v10
	v_mul_lo_u32 v10, v7, v10
	v_mul_hi_u32 v15, v7, v8
	v_add_co_u32_e32 v9, vcc, v9, v11
	v_addc_co_u32_e32 v11, vcc, 0, v14, vcc
	v_mul_lo_u32 v8, v7, v8
	v_add_co_u32_e32 v9, vcc, v9, v10
	v_addc_co_u32_e32 v9, vcc, v11, v13, vcc
	v_addc_co_u32_e32 v10, vcc, 0, v15, vcc
	v_add_co_u32_e32 v8, vcc, v9, v8
	v_addc_co_u32_e32 v9, vcc, 0, v10, vcc
	v_add_co_u32_e32 v4, vcc, v4, v8
	v_addc_co_u32_e32 v7, vcc, v7, v9, vcc
	v_mul_lo_u32 v8, s0, v7
	v_mul_hi_u32 v9, s0, v4
	v_mul_lo_u32 v10, s1, v4
	v_mul_lo_u32 v11, s0, v4
	v_add_u32_e32 v8, v9, v8
	v_add_u32_e32 v8, v8, v10
	v_mul_lo_u32 v13, v4, v8
	v_mul_hi_u32 v14, v4, v11
	v_mul_hi_u32 v15, v4, v8
	;; [unrolled: 1-line block ×3, first 2 shown]
	v_mul_lo_u32 v11, v7, v11
	v_mul_hi_u32 v9, v7, v8
	v_add_co_u32_e32 v13, vcc, v14, v13
	v_addc_co_u32_e32 v14, vcc, 0, v15, vcc
	v_mul_lo_u32 v8, v7, v8
	v_add_co_u32_e32 v11, vcc, v13, v11
	v_addc_co_u32_e32 v10, vcc, v14, v10, vcc
	v_addc_co_u32_e32 v9, vcc, 0, v9, vcc
	v_add_co_u32_e32 v8, vcc, v10, v8
	v_addc_co_u32_e32 v9, vcc, 0, v9, vcc
	v_add_co_u32_e32 v4, vcc, v4, v8
	v_addc_co_u32_e32 v9, vcc, v7, v9, vcc
	v_mad_u64_u32 v[7:8], s[0:1], v5, v9, 0
	v_mul_hi_u32 v10, v5, v4
	v_add_co_u32_e32 v11, vcc, v10, v7
	v_addc_co_u32_e32 v13, vcc, 0, v8, vcc
	v_mad_u64_u32 v[7:8], s[0:1], v6, v4, 0
	v_mad_u64_u32 v[9:10], s[0:1], v6, v9, 0
	v_add_co_u32_e32 v4, vcc, v11, v7
	v_addc_co_u32_e32 v4, vcc, v13, v8, vcc
	v_addc_co_u32_e32 v7, vcc, 0, v10, vcc
	v_add_co_u32_e32 v4, vcc, v4, v9
	v_addc_co_u32_e32 v9, vcc, 0, v7, vcc
	v_mul_lo_u32 v10, s21, v4
	v_mul_lo_u32 v11, s20, v9
	v_mad_u64_u32 v[7:8], s[0:1], s20, v4, 0
	v_add3_u32 v8, v8, v11, v10
	v_sub_u32_e32 v10, v6, v8
	v_mov_b32_e32 v11, s21
	v_sub_co_u32_e32 v7, vcc, v5, v7
	v_subb_co_u32_e64 v10, s[0:1], v10, v11, vcc
	v_subrev_co_u32_e64 v11, s[0:1], s20, v7
	v_subbrev_co_u32_e64 v10, s[0:1], 0, v10, s[0:1]
	v_cmp_le_u32_e64 s[0:1], s21, v10
	v_cndmask_b32_e64 v13, 0, -1, s[0:1]
	v_cmp_le_u32_e64 s[0:1], s20, v11
	v_cndmask_b32_e64 v11, 0, -1, s[0:1]
	v_cmp_eq_u32_e64 s[0:1], s21, v10
	v_cndmask_b32_e64 v10, v13, v11, s[0:1]
	v_add_co_u32_e64 v11, s[0:1], 2, v4
	v_addc_co_u32_e64 v13, s[0:1], 0, v9, s[0:1]
	v_add_co_u32_e64 v14, s[0:1], 1, v4
	v_addc_co_u32_e64 v15, s[0:1], 0, v9, s[0:1]
	v_subb_co_u32_e32 v8, vcc, v6, v8, vcc
	v_cmp_ne_u32_e64 s[0:1], 0, v10
	v_cmp_le_u32_e32 vcc, s21, v8
	v_cndmask_b32_e64 v10, v15, v13, s[0:1]
	v_cndmask_b32_e64 v13, 0, -1, vcc
	v_cmp_le_u32_e32 vcc, s20, v7
	v_cndmask_b32_e64 v7, 0, -1, vcc
	v_cmp_eq_u32_e32 vcc, s21, v8
	v_cndmask_b32_e32 v7, v13, v7, vcc
	v_cmp_ne_u32_e32 vcc, 0, v7
	v_cndmask_b32_e64 v7, v14, v11, s[0:1]
	v_cndmask_b32_e32 v8, v9, v10, vcc
	v_cndmask_b32_e32 v7, v4, v7, vcc
.LBB0_4:                                ;   in Loop: Header=BB0_2 Depth=1
	s_andn2_saveexec_b64 s[0:1], s[22:23]
	s_cbranch_execz .LBB0_6
; %bb.5:                                ;   in Loop: Header=BB0_2 Depth=1
	v_cvt_f32_u32_e32 v4, s20
	s_sub_i32 s22, 0, s20
	v_rcp_iflag_f32_e32 v4, v4
	v_mul_f32_e32 v4, 0x4f7ffffe, v4
	v_cvt_u32_f32_e32 v4, v4
	v_mul_lo_u32 v7, s22, v4
	v_mul_hi_u32 v7, v4, v7
	v_add_u32_e32 v4, v4, v7
	v_mul_hi_u32 v4, v5, v4
	v_mul_lo_u32 v7, v4, s20
	v_add_u32_e32 v8, 1, v4
	v_sub_u32_e32 v7, v5, v7
	v_subrev_u32_e32 v9, s20, v7
	v_cmp_le_u32_e32 vcc, s20, v7
	v_cndmask_b32_e32 v7, v7, v9, vcc
	v_cndmask_b32_e32 v4, v4, v8, vcc
	v_add_u32_e32 v8, 1, v4
	v_cmp_le_u32_e32 vcc, s20, v7
	v_cndmask_b32_e32 v7, v4, v8, vcc
	v_mov_b32_e32 v8, v3
.LBB0_6:                                ;   in Loop: Header=BB0_2 Depth=1
	s_or_b64 exec, exec, s[0:1]
	v_mul_lo_u32 v4, v8, s20
	v_mul_lo_u32 v11, v7, s21
	v_mad_u64_u32 v[9:10], s[0:1], v7, s20, 0
	s_load_dwordx2 s[0:1], s[6:7], 0x0
	s_add_u32 s16, s16, 1
	v_add3_u32 v4, v10, v11, v4
	v_sub_co_u32_e32 v5, vcc, v5, v9
	v_subb_co_u32_e32 v4, vcc, v6, v4, vcc
	s_waitcnt lgkmcnt(0)
	v_mul_lo_u32 v4, s0, v4
	v_mul_lo_u32 v6, s1, v5
	v_mad_u64_u32 v[1:2], s[0:1], s0, v5, v[1:2]
	s_addc_u32 s17, s17, 0
	s_add_u32 s6, s6, 8
	v_add3_u32 v2, v6, v2, v4
	v_mov_b32_e32 v4, s10
	v_mov_b32_e32 v5, s11
	s_addc_u32 s7, s7, 0
	v_cmp_ge_u64_e32 vcc, s[16:17], v[4:5]
	s_add_u32 s18, s18, 8
	s_addc_u32 s19, s19, 0
	s_cbranch_vccnz .LBB0_8
; %bb.7:                                ;   in Loop: Header=BB0_2 Depth=1
	v_mov_b32_e32 v5, v7
	v_mov_b32_e32 v6, v8
	s_branch .LBB0_2
.LBB0_8:
	s_lshl_b64 s[0:1], s[10:11], 3
	s_add_u32 s0, s14, s0
	s_addc_u32 s1, s15, s1
	s_load_dwordx2 s[6:7], s[0:1], 0x0
	s_load_dwordx2 s[10:11], s[4:5], 0x20
	v_mov_b32_e32 v15, 0
                                        ; implicit-def: $vgpr10_vgpr11
	s_waitcnt lgkmcnt(0)
	v_mad_u64_u32 v[1:2], s[0:1], s6, v7, v[1:2]
	v_mul_lo_u32 v3, s6, v8
	v_mul_lo_u32 v4, s7, v7
	s_mov_b32 s0, 0x1c71c71d
	v_mul_hi_u32 v5, v0, s0
	v_cmp_gt_u64_e32 vcc, s[10:11], v[7:8]
	v_add3_u32 v2, v4, v2, v3
	v_lshlrev_b64 v[13:14], 4, v[1:2]
	v_mul_u32_u24_e32 v3, 9, v5
	v_sub_u32_e32 v16, v0, v3
                                        ; implicit-def: $vgpr6_vgpr7
                                        ; implicit-def: $vgpr2_vgpr3
	s_and_saveexec_b64 s[4:5], vcc
	s_cbranch_execz .LBB0_10
; %bb.9:
	v_mad_u64_u32 v[0:1], s[0:1], s2, v16, 0
	v_add_u32_e32 v5, 9, v16
	v_mov_b32_e32 v4, s13
	v_mad_u64_u32 v[1:2], s[0:1], s3, v16, v[1:2]
	v_mad_u64_u32 v[2:3], s[0:1], s2, v5, 0
	v_add_co_u32_e64 v15, s[0:1], s12, v13
	v_addc_co_u32_e64 v20, s[0:1], v4, v14, s[0:1]
	v_mad_u64_u32 v[3:4], s[0:1], s3, v5, v[3:4]
	v_add_u32_e32 v8, 18, v16
	v_mad_u64_u32 v[4:5], s[0:1], s2, v8, 0
	v_lshlrev_b64 v[0:1], 4, v[0:1]
	v_add_co_u32_e64 v6, s[0:1], v15, v0
	v_addc_co_u32_e64 v7, s[0:1], v20, v1, s[0:1]
	v_lshlrev_b64 v[0:1], 4, v[2:3]
	v_mov_b32_e32 v2, v5
	v_mad_u64_u32 v[17:18], s[0:1], s3, v8, v[2:3]
	v_add_co_u32_e64 v18, s[0:1], v15, v0
	v_mov_b32_e32 v5, v17
	v_lshlrev_b64 v[4:5], 4, v[4:5]
	v_addc_co_u32_e64 v19, s[0:1], v20, v1, s[0:1]
	v_add_co_u32_e64 v4, s[0:1], v15, v4
	v_addc_co_u32_e64 v5, s[0:1], v20, v5, s[0:1]
	global_load_dwordx4 v[0:3], v[6:7], off
	global_load_dwordx4 v[8:11], v[18:19], off
	v_mov_b32_e32 v15, v16
	global_load_dwordx4 v[4:7], v[4:5], off
.LBB0_10:
	s_or_b64 exec, exec, s[4:5]
	s_waitcnt vmcnt(0)
	v_add_f64 v[17:18], v[4:5], v[8:9]
	v_add_f64 v[19:20], v[6:7], v[10:11]
	;; [unrolled: 1-line block ×4, first 2 shown]
	v_add_f64 v[10:11], v[10:11], -v[6:7]
	s_mov_b32 s0, 0x24924925
	v_lshrrev_b32_e32 v25, 2, v12
	v_add_f64 v[8:9], v[8:9], -v[4:5]
	v_fma_f64 v[0:1], v[17:18], -0.5, v[0:1]
	v_mul_hi_u32 v17, v25, s0
	s_mov_b32 s0, 0xe8584caa
	s_mov_b32 s1, 0xbfebb67a
	;; [unrolled: 1-line block ×3, first 2 shown]
	v_mul_lo_u32 v25, v17, 28
	v_fma_f64 v[2:3], v[19:20], -0.5, v[2:3]
	v_add_f64 v[4:5], v[4:5], v[21:22]
	v_fma_f64 v[17:18], v[10:11], s[0:1], v[0:1]
	s_mov_b32 s4, s0
	v_fma_f64 v[0:1], v[10:11], s[4:5], v[0:1]
	v_add_f64 v[10:11], v[6:7], v[23:24]
	v_sub_u32_e32 v6, v12, v25
	v_mul_u32_u24_e32 v6, 27, v6
	v_lshlrev_b32_e32 v12, 3, v6
	v_add_u32_e32 v6, 0, v12
	v_mad_u32_u24 v19, v16, 24, v6
	ds_write2_b64 v19, v[4:5], v[17:18] offset1:1
	ds_write_b64 v19, v[0:1] offset:16
	v_fma_f64 v[17:18], v[8:9], s[4:5], v[2:3]
	v_fma_f64 v[8:9], v[8:9], s[0:1], v[2:3]
	v_lshlrev_b32_e32 v0, 4, v16
	v_lshl_add_u32 v6, v16, 3, v6
	v_sub_u32_e32 v7, v19, v0
	s_movk_i32 s6, 0xab
	s_waitcnt lgkmcnt(0)
	s_barrier
	ds_read_b64 v[4:5], v6
	ds_read2_b64 v[0:3], v7 offset0:9 offset1:18
	s_waitcnt lgkmcnt(0)
	s_barrier
	ds_write2_b64 v19, v[10:11], v[17:18] offset1:1
	ds_write_b64 v19, v[8:9] offset:16
	v_mul_lo_u16_sdwa v8, v16, s6 dst_sel:DWORD dst_unused:UNUSED_PAD src0_sel:BYTE_0 src1_sel:DWORD
	v_lshrrev_b16_e32 v27, 9, v8
	v_mul_lo_u16_e32 v8, 3, v27
	v_sub_u16_e32 v28, v16, v8
	v_mov_b32_e32 v8, 5
	v_lshlrev_b32_sdwa v21, v8, v28 dst_sel:DWORD dst_unused:UNUSED_PAD src0_sel:DWORD src1_sel:BYTE_0
	s_waitcnt lgkmcnt(0)
	s_barrier
	global_load_dwordx4 v[8:11], v21, s[8:9]
	global_load_dwordx4 v[17:20], v21, s[8:9] offset:16
	ds_read2_b64 v[21:24], v7 offset0:9 offset1:18
	s_movk_i32 s6, 0x48
	s_waitcnt vmcnt(1) lgkmcnt(0)
	v_mul_f64 v[25:26], v[21:22], v[10:11]
	v_fma_f64 v[25:26], v[0:1], v[8:9], v[25:26]
	v_mul_f64 v[0:1], v[0:1], v[10:11]
	v_fma_f64 v[0:1], v[21:22], v[8:9], -v[0:1]
	s_waitcnt vmcnt(0)
	v_mul_f64 v[8:9], v[23:24], v[19:20]
	v_fma_f64 v[8:9], v[2:3], v[17:18], v[8:9]
	v_mul_f64 v[2:3], v[2:3], v[19:20]
	v_add_f64 v[19:20], v[4:5], v[25:26]
	v_add_f64 v[10:11], v[25:26], v[8:9]
	v_fma_f64 v[2:3], v[23:24], v[17:18], -v[2:3]
	v_mov_b32_e32 v17, 3
	v_lshlrev_b32_sdwa v23, v17, v28 dst_sel:DWORD dst_unused:UNUSED_PAD src0_sel:DWORD src1_sel:BYTE_0
	ds_read_b64 v[17:18], v6
	v_mad_u32_u24 v24, v27, s6, 0
	v_add3_u32 v12, v24, v23, v12
	v_add_f64 v[23:24], v[25:26], -v[8:9]
	v_fma_f64 v[4:5], v[10:11], -0.5, v[4:5]
	v_add_f64 v[21:22], v[0:1], v[2:3]
	v_add_f64 v[10:11], v[0:1], -v[2:3]
	s_waitcnt lgkmcnt(0)
	v_add_f64 v[0:1], v[17:18], v[0:1]
	v_add_f64 v[8:9], v[19:20], v[8:9]
	s_barrier
	v_fma_f64 v[17:18], v[21:22], -0.5, v[17:18]
	v_fma_f64 v[19:20], v[10:11], s[0:1], v[4:5]
	v_fma_f64 v[4:5], v[10:11], s[4:5], v[4:5]
	v_add_f64 v[10:11], v[0:1], v[2:3]
	ds_write2_b64 v12, v[8:9], v[19:20] offset1:3
	ds_write_b64 v12, v[4:5] offset:48
	v_fma_f64 v[21:22], v[23:24], s[4:5], v[17:18]
	v_fma_f64 v[17:18], v[23:24], s[0:1], v[17:18]
	s_waitcnt lgkmcnt(0)
	s_barrier
	ds_read_b64 v[4:5], v6
	ds_read2_b64 v[0:3], v7 offset0:9 offset1:18
	s_waitcnt lgkmcnt(0)
	s_barrier
	ds_write2_b64 v12, v[10:11], v[21:22] offset1:3
	ds_write_b64 v12, v[17:18] offset:48
	s_waitcnt lgkmcnt(0)
	s_barrier
	s_and_saveexec_b64 s[6:7], vcc
	s_cbranch_execz .LBB0_12
; %bb.11:
	v_lshlrev_b32_e32 v8, 1, v16
	v_mov_b32_e32 v9, 0
	v_lshlrev_b64 v[8:9], 4, v[8:9]
	v_mov_b32_e32 v10, s9
	v_add_co_u32_e32 v20, vcc, s8, v8
	v_addc_co_u32_e32 v21, vcc, v10, v9, vcc
	global_load_dwordx4 v[8:11], v[20:21], off offset:96
	global_load_dwordx4 v[16:19], v[20:21], off offset:112
	ds_read2_b64 v[20:23], v7 offset0:9 offset1:18
	v_add_co_u32_e32 v30, vcc, s12, v13
	s_waitcnt vmcnt(1)
	v_mul_f64 v[24:25], v[0:1], v[10:11]
	s_waitcnt lgkmcnt(0)
	v_mul_f64 v[10:11], v[20:21], v[10:11]
	s_waitcnt vmcnt(0)
	v_mul_f64 v[26:27], v[2:3], v[18:19]
	v_fma_f64 v[20:21], v[20:21], v[8:9], -v[24:25]
	v_fma_f64 v[0:1], v[0:1], v[8:9], v[10:11]
	v_mul_f64 v[11:12], v[22:23], v[18:19]
	v_mad_u64_u32 v[7:8], s[6:7], s2, v15, 0
	v_fma_f64 v[9:10], v[22:23], v[16:17], -v[26:27]
	v_add_u32_e32 v22, 9, v15
	v_add_u32_e32 v25, 18, v15
	v_mov_b32_e32 v24, s13
	v_addc_co_u32_e32 v31, vcc, v24, v14, vcc
	v_fma_f64 v[11:12], v[2:3], v[16:17], v[11:12]
	v_mad_u64_u32 v[2:3], s[6:7], s2, v22, 0
	v_mad_u64_u32 v[16:17], s[6:7], s2, v25, 0
	ds_read_b64 v[13:14], v6
	v_mov_b32_e32 v6, v8
	v_mad_u64_u32 v[18:19], s[6:7], s3, v15, v[6:7]
	v_mov_b32_e32 v6, v17
	v_mad_u64_u32 v[22:23], s[6:7], s3, v22, v[3:4]
	v_mad_u64_u32 v[23:24], s[2:3], s3, v25, v[6:7]
	v_mov_b32_e32 v8, v18
	v_mov_b32_e32 v3, v22
	;; [unrolled: 1-line block ×3, first 2 shown]
	v_add_f64 v[18:19], v[20:21], v[9:10]
	v_add_f64 v[22:23], v[0:1], v[11:12]
	v_lshlrev_b64 v[24:25], 4, v[2:3]
	s_waitcnt lgkmcnt(0)
	v_add_f64 v[2:3], v[13:14], v[20:21]
	v_add_f64 v[26:27], v[4:5], v[0:1]
	v_lshlrev_b64 v[15:16], 4, v[16:17]
	v_add_f64 v[28:29], v[0:1], -v[11:12]
	v_add_f64 v[20:21], v[20:21], -v[9:10]
	v_fma_f64 v[13:14], v[18:19], -0.5, v[13:14]
	v_fma_f64 v[17:18], v[22:23], -0.5, v[4:5]
	v_lshlrev_b64 v[6:7], 4, v[7:8]
	v_add_f64 v[2:3], v[2:3], v[9:10]
	v_add_f64 v[0:1], v[26:27], v[11:12]
	v_add_co_u32_e32 v22, vcc, v30, v6
	v_addc_co_u32_e32 v23, vcc, v31, v7, vcc
	v_fma_f64 v[10:11], v[28:29], s[4:5], v[13:14]
	v_fma_f64 v[8:9], v[20:21], s[0:1], v[17:18]
	;; [unrolled: 1-line block ×4, first 2 shown]
	v_add_co_u32_e32 v12, vcc, v30, v24
	v_addc_co_u32_e32 v13, vcc, v31, v25, vcc
	v_add_co_u32_e32 v14, vcc, v30, v15
	v_addc_co_u32_e32 v15, vcc, v31, v16, vcc
	global_store_dwordx4 v[22:23], v[0:3], off
	global_store_dwordx4 v[12:13], v[8:11], off
	;; [unrolled: 1-line block ×3, first 2 shown]
.LBB0_12:
	s_endpgm
	.section	.rodata,"a",@progbits
	.p2align	6, 0x0
	.amdhsa_kernel fft_rtc_back_len27_factors_3_3_3_wgs_252_tpt_9_halfLds_dp_ip_CI_sbrr_dirReg
		.amdhsa_group_segment_fixed_size 0
		.amdhsa_private_segment_fixed_size 0
		.amdhsa_kernarg_size 88
		.amdhsa_user_sgpr_count 6
		.amdhsa_user_sgpr_private_segment_buffer 1
		.amdhsa_user_sgpr_dispatch_ptr 0
		.amdhsa_user_sgpr_queue_ptr 0
		.amdhsa_user_sgpr_kernarg_segment_ptr 1
		.amdhsa_user_sgpr_dispatch_id 0
		.amdhsa_user_sgpr_flat_scratch_init 0
		.amdhsa_user_sgpr_private_segment_size 0
		.amdhsa_uses_dynamic_stack 0
		.amdhsa_system_sgpr_private_segment_wavefront_offset 0
		.amdhsa_system_sgpr_workgroup_id_x 1
		.amdhsa_system_sgpr_workgroup_id_y 0
		.amdhsa_system_sgpr_workgroup_id_z 0
		.amdhsa_system_sgpr_workgroup_info 0
		.amdhsa_system_vgpr_workitem_id 0
		.amdhsa_next_free_vgpr 32
		.amdhsa_next_free_sgpr 24
		.amdhsa_reserve_vcc 1
		.amdhsa_reserve_flat_scratch 0
		.amdhsa_float_round_mode_32 0
		.amdhsa_float_round_mode_16_64 0
		.amdhsa_float_denorm_mode_32 3
		.amdhsa_float_denorm_mode_16_64 3
		.amdhsa_dx10_clamp 1
		.amdhsa_ieee_mode 1
		.amdhsa_fp16_overflow 0
		.amdhsa_exception_fp_ieee_invalid_op 0
		.amdhsa_exception_fp_denorm_src 0
		.amdhsa_exception_fp_ieee_div_zero 0
		.amdhsa_exception_fp_ieee_overflow 0
		.amdhsa_exception_fp_ieee_underflow 0
		.amdhsa_exception_fp_ieee_inexact 0
		.amdhsa_exception_int_div_zero 0
	.end_amdhsa_kernel
	.text
.Lfunc_end0:
	.size	fft_rtc_back_len27_factors_3_3_3_wgs_252_tpt_9_halfLds_dp_ip_CI_sbrr_dirReg, .Lfunc_end0-fft_rtc_back_len27_factors_3_3_3_wgs_252_tpt_9_halfLds_dp_ip_CI_sbrr_dirReg
                                        ; -- End function
	.section	.AMDGPU.csdata,"",@progbits
; Kernel info:
; codeLenInByte = 2404
; NumSgprs: 28
; NumVgprs: 32
; ScratchSize: 0
; MemoryBound: 1
; FloatMode: 240
; IeeeMode: 1
; LDSByteSize: 0 bytes/workgroup (compile time only)
; SGPRBlocks: 3
; VGPRBlocks: 7
; NumSGPRsForWavesPerEU: 28
; NumVGPRsForWavesPerEU: 32
; Occupancy: 8
; WaveLimiterHint : 1
; COMPUTE_PGM_RSRC2:SCRATCH_EN: 0
; COMPUTE_PGM_RSRC2:USER_SGPR: 6
; COMPUTE_PGM_RSRC2:TRAP_HANDLER: 0
; COMPUTE_PGM_RSRC2:TGID_X_EN: 1
; COMPUTE_PGM_RSRC2:TGID_Y_EN: 0
; COMPUTE_PGM_RSRC2:TGID_Z_EN: 0
; COMPUTE_PGM_RSRC2:TIDIG_COMP_CNT: 0
	.type	__hip_cuid_80d94507a13d0191,@object ; @__hip_cuid_80d94507a13d0191
	.section	.bss,"aw",@nobits
	.globl	__hip_cuid_80d94507a13d0191
__hip_cuid_80d94507a13d0191:
	.byte	0                               ; 0x0
	.size	__hip_cuid_80d94507a13d0191, 1

	.ident	"AMD clang version 19.0.0git (https://github.com/RadeonOpenCompute/llvm-project roc-6.4.0 25133 c7fe45cf4b819c5991fe208aaa96edf142730f1d)"
	.section	".note.GNU-stack","",@progbits
	.addrsig
	.addrsig_sym __hip_cuid_80d94507a13d0191
	.amdgpu_metadata
---
amdhsa.kernels:
  - .args:
      - .actual_access:  read_only
        .address_space:  global
        .offset:         0
        .size:           8
        .value_kind:     global_buffer
      - .offset:         8
        .size:           8
        .value_kind:     by_value
      - .actual_access:  read_only
        .address_space:  global
        .offset:         16
        .size:           8
        .value_kind:     global_buffer
      - .actual_access:  read_only
        .address_space:  global
        .offset:         24
        .size:           8
        .value_kind:     global_buffer
      - .offset:         32
        .size:           8
        .value_kind:     by_value
      - .actual_access:  read_only
        .address_space:  global
        .offset:         40
        .size:           8
        .value_kind:     global_buffer
      - .actual_access:  read_only
        .address_space:  global
        .offset:         48
        .size:           8
        .value_kind:     global_buffer
      - .offset:         56
        .size:           4
        .value_kind:     by_value
      - .actual_access:  read_only
        .address_space:  global
        .offset:         64
        .size:           8
        .value_kind:     global_buffer
      - .actual_access:  read_only
        .address_space:  global
        .offset:         72
        .size:           8
        .value_kind:     global_buffer
      - .address_space:  global
        .offset:         80
        .size:           8
        .value_kind:     global_buffer
    .group_segment_fixed_size: 0
    .kernarg_segment_align: 8
    .kernarg_segment_size: 88
    .language:       OpenCL C
    .language_version:
      - 2
      - 0
    .max_flat_workgroup_size: 252
    .name:           fft_rtc_back_len27_factors_3_3_3_wgs_252_tpt_9_halfLds_dp_ip_CI_sbrr_dirReg
    .private_segment_fixed_size: 0
    .sgpr_count:     28
    .sgpr_spill_count: 0
    .symbol:         fft_rtc_back_len27_factors_3_3_3_wgs_252_tpt_9_halfLds_dp_ip_CI_sbrr_dirReg.kd
    .uniform_work_group_size: 1
    .uses_dynamic_stack: false
    .vgpr_count:     32
    .vgpr_spill_count: 0
    .wavefront_size: 64
amdhsa.target:   amdgcn-amd-amdhsa--gfx906
amdhsa.version:
  - 1
  - 2
...

	.end_amdgpu_metadata
